;; amdgpu-corpus repo=ROCm/HIPIFY kind=compiled arch=gfx1250 opt=O3
	.amdgcn_target "amdgcn-amd-amdhsa--gfx1250"
	.amdhsa_code_object_version 6
	.text
	.protected	_Z4initv                ; -- Begin function _Z4initv
	.globl	_Z4initv
	.p2align	8
	.type	_Z4initv,@function
_Z4initv:                               ; @_Z4initv
; %bb.0:
	s_endpgm
	.section	.rodata,"a",@progbits
	.p2align	6, 0x0
	.amdhsa_kernel _Z4initv
		.amdhsa_group_segment_fixed_size 0
		.amdhsa_private_segment_fixed_size 0
		.amdhsa_kernarg_size 0
		.amdhsa_user_sgpr_count 0
		.amdhsa_user_sgpr_dispatch_ptr 0
		.amdhsa_user_sgpr_queue_ptr 0
		.amdhsa_user_sgpr_kernarg_segment_ptr 0
		.amdhsa_user_sgpr_dispatch_id 0
		.amdhsa_user_sgpr_kernarg_preload_length 0
		.amdhsa_user_sgpr_kernarg_preload_offset 0
		.amdhsa_user_sgpr_private_segment_size 0
		.amdhsa_wavefront_size32 1
		.amdhsa_uses_dynamic_stack 0
		.amdhsa_enable_private_segment 0
		.amdhsa_system_sgpr_workgroup_id_x 1
		.amdhsa_system_sgpr_workgroup_id_y 0
		.amdhsa_system_sgpr_workgroup_id_z 0
		.amdhsa_system_sgpr_workgroup_info 0
		.amdhsa_system_vgpr_workitem_id 0
		.amdhsa_next_free_vgpr 1
		.amdhsa_next_free_sgpr 1
		.amdhsa_named_barrier_count 0
		.amdhsa_reserve_vcc 0
		.amdhsa_float_round_mode_32 0
		.amdhsa_float_round_mode_16_64 0
		.amdhsa_float_denorm_mode_32 3
		.amdhsa_float_denorm_mode_16_64 3
		.amdhsa_fp16_overflow 0
		.amdhsa_memory_ordered 1
		.amdhsa_forward_progress 1
		.amdhsa_inst_pref_size 1
		.amdhsa_round_robin_scheduling 0
		.amdhsa_exception_fp_ieee_invalid_op 0
		.amdhsa_exception_fp_denorm_src 0
		.amdhsa_exception_fp_ieee_div_zero 0
		.amdhsa_exception_fp_ieee_overflow 0
		.amdhsa_exception_fp_ieee_underflow 0
		.amdhsa_exception_fp_ieee_inexact 0
		.amdhsa_exception_int_div_zero 0
	.end_amdhsa_kernel
	.text
.Lfunc_end0:
	.size	_Z4initv, .Lfunc_end0-_Z4initv
                                        ; -- End function
	.set _Z4initv.num_vgpr, 0
	.set _Z4initv.num_agpr, 0
	.set _Z4initv.numbered_sgpr, 0
	.set _Z4initv.num_named_barrier, 0
	.set _Z4initv.private_seg_size, 0
	.set _Z4initv.uses_vcc, 0
	.set _Z4initv.uses_flat_scratch, 0
	.set _Z4initv.has_dyn_sized_stack, 0
	.set _Z4initv.has_recursion, 0
	.set _Z4initv.has_indirect_call, 0
	.section	.AMDGPU.csdata,"",@progbits
; Kernel info:
; codeLenInByte = 4
; TotalNumSgprs: 0
; NumVgprs: 0
; ScratchSize: 0
; MemoryBound: 0
; FloatMode: 240
; IeeeMode: 1
; LDSByteSize: 0 bytes/workgroup (compile time only)
; SGPRBlocks: 0
; VGPRBlocks: 0
; NumSGPRsForWavesPerEU: 1
; NumVGPRsForWavesPerEU: 1
; NamedBarCnt: 0
; Occupancy: 16
; WaveLimiterHint : 0
; COMPUTE_PGM_RSRC2:SCRATCH_EN: 0
; COMPUTE_PGM_RSRC2:USER_SGPR: 0
; COMPUTE_PGM_RSRC2:TRAP_HANDLER: 0
; COMPUTE_PGM_RSRC2:TGID_X_EN: 1
; COMPUTE_PGM_RSRC2:TGID_Y_EN: 0
; COMPUTE_PGM_RSRC2:TGID_Z_EN: 0
; COMPUTE_PGM_RSRC2:TIDIG_COMP_CNT: 0
	.text
	.p2alignl 7, 3214868480
	.fill 96, 4, 3214868480
	.section	.AMDGPU.gpr_maximums,"",@progbits
	.set amdgpu.max_num_vgpr, 0
	.set amdgpu.max_num_agpr, 0
	.set amdgpu.max_num_sgpr, 0
	.text
	.protected	INF_F                   ; @INF_F
	.type	INF_F,@object
	.section	.rodata,"a",@progbits
	.globl	INF_F
	.p2align	2, 0x0
INF_F:
	.long	0x00000000                      ; float 0
	.size	INF_F, 4

	.protected	NAN_F                   ; @NAN_F
	.type	NAN_F,@object
	.globl	NAN_F
	.p2align	2, 0x0
NAN_F:
	.long	0x00000000                      ; float 0
	.size	NAN_F, 4

	.protected	MIN_DENORM_F            ; @MIN_DENORM_F
	.type	MIN_DENORM_F,@object
	.globl	MIN_DENORM_F
	.p2align	2, 0x0
MIN_DENORM_F:
	.long	0x00000000                      ; float 0
	.size	MIN_DENORM_F, 4

	.protected	MAX_NORMAL_F            ; @MAX_NORMAL_F
	.type	MAX_NORMAL_F,@object
	.globl	MAX_NORMAL_F
	.p2align	2, 0x0
MAX_NORMAL_F:
	.long	0x00000000                      ; float 0
	.size	MAX_NORMAL_F, 4

	.protected	NEG_ZERO_F              ; @NEG_ZERO_F
	.type	NEG_ZERO_F,@object
	.globl	NEG_ZERO_F
	.p2align	2, 0x0
NEG_ZERO_F:
	.long	0x00000000                      ; float 0
	.size	NEG_ZERO_F, 4

	.protected	ZERO_F                  ; @ZERO_F
	.type	ZERO_F,@object
	.globl	ZERO_F
	.p2align	2, 0x0
ZERO_F:
	.long	0x00000000                      ; float 0
	.size	ZERO_F, 4

	.protected	ONE_F                   ; @ONE_F
	.type	ONE_F,@object
	.globl	ONE_F
	.p2align	2, 0x0
ONE_F:
	.long	0x00000000                      ; float 0
	.size	ONE_F, 4

	.protected	SQRT_HALF_F             ; @SQRT_HALF_F
	.type	SQRT_HALF_F,@object
	.globl	SQRT_HALF_F
	.p2align	2, 0x0
SQRT_HALF_F:
	.long	0x00000000                      ; float 0
	.size	SQRT_HALF_F, 4

	.protected	SQRT_HALF_HI_F          ; @SQRT_HALF_HI_F
	.type	SQRT_HALF_HI_F,@object
	.globl	SQRT_HALF_HI_F
	.p2align	2, 0x0
SQRT_HALF_HI_F:
	.long	0x00000000                      ; float 0
	.size	SQRT_HALF_HI_F, 4

	.protected	SQRT_HALF_LO_F          ; @SQRT_HALF_LO_F
	.type	SQRT_HALF_LO_F,@object
	.globl	SQRT_HALF_LO_F
	.p2align	2, 0x0
SQRT_HALF_LO_F:
	.long	0x00000000                      ; float 0
	.size	SQRT_HALF_LO_F, 4

	.protected	SQRT_TWO_F              ; @SQRT_TWO_F
	.type	SQRT_TWO_F,@object
	.globl	SQRT_TWO_F
	.p2align	2, 0x0
SQRT_TWO_F:
	.long	0x00000000                      ; float 0
	.size	SQRT_TWO_F, 4

	.protected	THIRD_F                 ; @THIRD_F
	.type	THIRD_F,@object
	.globl	THIRD_F
	.p2align	2, 0x0
THIRD_F:
	.long	0x00000000                      ; float 0
	.size	THIRD_F, 4

	.protected	PIO4_F                  ; @PIO4_F
	.type	PIO4_F,@object
	.globl	PIO4_F
	.p2align	2, 0x0
PIO4_F:
	.long	0x00000000                      ; float 0
	.size	PIO4_F, 4

	.protected	PIO2_F                  ; @PIO2_F
	.type	PIO2_F,@object
	.globl	PIO2_F
	.p2align	2, 0x0
PIO2_F:
	.long	0x00000000                      ; float 0
	.size	PIO2_F, 4

	.protected	_3PIO4_F                ; @_3PIO4_F
	.type	_3PIO4_F,@object
	.globl	_3PIO4_F
	.p2align	2, 0x0
_3PIO4_F:
	.long	0x00000000                      ; float 0
	.size	_3PIO4_F, 4

	.protected	_2_OVER_PI_F            ; @_2_OVER_PI_F
	.type	_2_OVER_PI_F,@object
	.globl	_2_OVER_PI_F
	.p2align	2, 0x0
_2_OVER_PI_F:
	.long	0x00000000                      ; float 0
	.size	_2_OVER_PI_F, 4

	.protected	SQRT_2_OVER_PI_F        ; @SQRT_2_OVER_PI_F
	.type	SQRT_2_OVER_PI_F,@object
	.globl	SQRT_2_OVER_PI_F
	.p2align	2, 0x0
SQRT_2_OVER_PI_F:
	.long	0x00000000                      ; float 0
	.size	SQRT_2_OVER_PI_F, 4

	.protected	PI_F                    ; @PI_F
	.type	PI_F,@object
	.globl	PI_F
	.p2align	2, 0x0
PI_F:
	.long	0x00000000                      ; float 0
	.size	PI_F, 4

	.protected	L2E_F                   ; @L2E_F
	.type	L2E_F,@object
	.globl	L2E_F
	.p2align	2, 0x0
L2E_F:
	.long	0x00000000                      ; float 0
	.size	L2E_F, 4

	.protected	L2T_F                   ; @L2T_F
	.type	L2T_F,@object
	.globl	L2T_F
	.p2align	2, 0x0
L2T_F:
	.long	0x00000000                      ; float 0
	.size	L2T_F, 4

	.protected	LG2_F                   ; @LG2_F
	.type	LG2_F,@object
	.globl	LG2_F
	.p2align	2, 0x0
LG2_F:
	.long	0x00000000                      ; float 0
	.size	LG2_F, 4

	.protected	LGE_F                   ; @LGE_F
	.type	LGE_F,@object
	.globl	LGE_F
	.p2align	2, 0x0
LGE_F:
	.long	0x00000000                      ; float 0
	.size	LGE_F, 4

	.protected	LN2_F                   ; @LN2_F
	.type	LN2_F,@object
	.globl	LN2_F
	.p2align	2, 0x0
LN2_F:
	.long	0x00000000                      ; float 0
	.size	LN2_F, 4

	.protected	LNT_F                   ; @LNT_F
	.type	LNT_F,@object
	.globl	LNT_F
	.p2align	2, 0x0
LNT_F:
	.long	0x00000000                      ; float 0
	.size	LNT_F, 4

	.protected	LNPI_F                  ; @LNPI_F
	.type	LNPI_F,@object
	.globl	LNPI_F
	.p2align	2, 0x0
LNPI_F:
	.long	0x00000000                      ; float 0
	.size	LNPI_F, 4

	.protected	TWO_TO_M126_F           ; @TWO_TO_M126_F
	.type	TWO_TO_M126_F,@object
	.globl	TWO_TO_M126_F
	.p2align	2, 0x0
TWO_TO_M126_F:
	.long	0x00000000                      ; float 0
	.size	TWO_TO_M126_F, 4

	.protected	TWO_TO_126_F            ; @TWO_TO_126_F
	.type	TWO_TO_126_F,@object
	.globl	TWO_TO_126_F
	.p2align	2, 0x0
TWO_TO_126_F:
	.long	0x00000000                      ; float 0
	.size	TWO_TO_126_F, 4

	.protected	NORM_HUGE_F             ; @NORM_HUGE_F
	.type	NORM_HUGE_F,@object
	.globl	NORM_HUGE_F
	.p2align	2, 0x0
NORM_HUGE_F:
	.long	0x00000000                      ; float 0
	.size	NORM_HUGE_F, 4

	.protected	TWO_TO_23_F             ; @TWO_TO_23_F
	.type	TWO_TO_23_F,@object
	.globl	TWO_TO_23_F
	.p2align	2, 0x0
TWO_TO_23_F:
	.long	0x00000000                      ; float 0
	.size	TWO_TO_23_F, 4

	.protected	TWO_TO_24_F             ; @TWO_TO_24_F
	.type	TWO_TO_24_F,@object
	.globl	TWO_TO_24_F
	.p2align	2, 0x0
TWO_TO_24_F:
	.long	0x00000000                      ; float 0
	.size	TWO_TO_24_F, 4

	.protected	TWO_TO_31_F             ; @TWO_TO_31_F
	.type	TWO_TO_31_F,@object
	.globl	TWO_TO_31_F
	.p2align	2, 0x0
TWO_TO_31_F:
	.long	0x00000000                      ; float 0
	.size	TWO_TO_31_F, 4

	.protected	TWO_TO_32_F             ; @TWO_TO_32_F
	.type	TWO_TO_32_F,@object
	.globl	TWO_TO_32_F
	.p2align	2, 0x0
TWO_TO_32_F:
	.long	0x00000000                      ; float 0
	.size	TWO_TO_32_F, 4

	.protected	REMQUO_BITS_F           ; @REMQUO_BITS_F
	.type	REMQUO_BITS_F,@object
	.globl	REMQUO_BITS_F
	.p2align	2, 0x0
REMQUO_BITS_F:
	.long	0x00000000                      ; float 0
	.size	REMQUO_BITS_F, 4

	.protected	REMQUO_MASK_F           ; @REMQUO_MASK_F
	.type	REMQUO_MASK_F,@object
	.globl	REMQUO_MASK_F
	.p2align	2, 0x0
REMQUO_MASK_F:
	.long	0x00000000                      ; float 0
	.size	REMQUO_MASK_F, 4

	.protected	TRIG_PLOSS_F            ; @TRIG_PLOSS_F
	.type	TRIG_PLOSS_F,@object
	.globl	TRIG_PLOSS_F
	.p2align	3, 0x0
TRIG_PLOSS_F:
	.quad	0x0000000000000000              ; double 0
	.size	TRIG_PLOSS_F, 8

	.protected	INF                     ; @INF
	.type	INF,@object
	.globl	INF
	.p2align	3, 0x0
INF:
	.quad	0x0000000000000000              ; double 0
	.size	INF, 8

	.protected	NAN_                    ; @NAN_
	.type	NAN_,@object
	.globl	NAN_
	.p2align	3, 0x0
NAN_:
	.quad	0x0000000000000000              ; double 0
	.size	NAN_, 8

	.protected	NEG_ZERO                ; @NEG_ZERO
	.type	NEG_ZERO,@object
	.globl	NEG_ZERO
	.p2align	3, 0x0
NEG_ZERO:
	.quad	0x0000000000000000              ; double 0
	.size	NEG_ZERO, 8

	.protected	MIN_DENORM              ; @MIN_DENORM
	.type	MIN_DENORM,@object
	.globl	MIN_DENORM
	.p2align	3, 0x0
MIN_DENORM:
	.quad	0x0000000000000000              ; double 0
	.size	MIN_DENORM, 8

	.protected	ZERO                    ; @ZERO
	.type	ZERO,@object
	.globl	ZERO
	.p2align	3, 0x0
ZERO:
	.quad	0x0000000000000000              ; double 0
	.size	ZERO, 8

	.protected	ONE                     ; @ONE
	.type	ONE,@object
	.globl	ONE
	.p2align	3, 0x0
ONE:
	.quad	0x0000000000000000              ; double 0
	.size	ONE, 8

	.protected	SQRT_TWO                ; @SQRT_TWO
	.type	SQRT_TWO,@object
	.globl	SQRT_TWO
	.p2align	3, 0x0
SQRT_TWO:
	.quad	0x0000000000000000              ; double 0
	.size	SQRT_TWO, 8

	.protected	SQRT_HALF               ; @SQRT_HALF
	.type	SQRT_HALF,@object
	.globl	SQRT_HALF
	.p2align	3, 0x0
SQRT_HALF:
	.quad	0x0000000000000000              ; double 0
	.size	SQRT_HALF, 8

	.protected	SQRT_HALF_HI            ; @SQRT_HALF_HI
	.type	SQRT_HALF_HI,@object
	.globl	SQRT_HALF_HI
	.p2align	3, 0x0
SQRT_HALF_HI:
	.quad	0x0000000000000000              ; double 0
	.size	SQRT_HALF_HI, 8

	.protected	SQRT_HALF_LO            ; @SQRT_HALF_LO
	.type	SQRT_HALF_LO,@object
	.globl	SQRT_HALF_LO
	.p2align	3, 0x0
SQRT_HALF_LO:
	.quad	0x0000000000000000              ; double 0
	.size	SQRT_HALF_LO, 8

	.protected	THIRD                   ; @THIRD
	.type	THIRD,@object
	.globl	THIRD
	.p2align	3, 0x0
THIRD:
	.quad	0x0000000000000000              ; double 0
	.size	THIRD, 8

	.protected	TWOTHIRD                ; @TWOTHIRD
	.type	TWOTHIRD,@object
	.globl	TWOTHIRD
	.p2align	3, 0x0
TWOTHIRD:
	.quad	0x0000000000000000              ; double 0
	.size	TWOTHIRD, 8

	.protected	PIO4                    ; @PIO4
	.type	PIO4,@object
	.globl	PIO4
	.p2align	3, 0x0
PIO4:
	.quad	0x0000000000000000              ; double 0
	.size	PIO4, 8

	.protected	PIO4_HI                 ; @PIO4_HI
	.type	PIO4_HI,@object
	.globl	PIO4_HI
	.p2align	3, 0x0
PIO4_HI:
	.quad	0x0000000000000000              ; double 0
	.size	PIO4_HI, 8

	.protected	PIO4_LO                 ; @PIO4_LO
	.type	PIO4_LO,@object
	.globl	PIO4_LO
	.p2align	3, 0x0
PIO4_LO:
	.quad	0x0000000000000000              ; double 0
	.size	PIO4_LO, 8

	.protected	PIO2                    ; @PIO2
	.type	PIO2,@object
	.globl	PIO2
	.p2align	3, 0x0
PIO2:
	.quad	0x0000000000000000              ; double 0
	.size	PIO2, 8

	.protected	PIO2_HI                 ; @PIO2_HI
	.type	PIO2_HI,@object
	.globl	PIO2_HI
	.p2align	3, 0x0
PIO2_HI:
	.quad	0x0000000000000000              ; double 0
	.size	PIO2_HI, 8

	.protected	PIO2_LO                 ; @PIO2_LO
	.type	PIO2_LO,@object
	.globl	PIO2_LO
	.p2align	3, 0x0
PIO2_LO:
	.quad	0x0000000000000000              ; double 0
	.size	PIO2_LO, 8

	.protected	_3PIO4                  ; @_3PIO4
	.type	_3PIO4,@object
	.globl	_3PIO4
	.p2align	3, 0x0
_3PIO4:
	.quad	0x0000000000000000              ; double 0
	.size	_3PIO4, 8

	.protected	_2_OVER_PI              ; @_2_OVER_PI
	.type	_2_OVER_PI,@object
	.globl	_2_OVER_PI
	.p2align	3, 0x0
_2_OVER_PI:
	.quad	0x0000000000000000              ; double 0
	.size	_2_OVER_PI, 8

	.protected	_PI                     ; @_PI
	.type	_PI,@object
	.globl	_PI
	.p2align	3, 0x0
_PI:
	.quad	0x0000000000000000              ; double 0
	.size	_PI, 8

	.protected	PI_HI                   ; @PI_HI
	.type	PI_HI,@object
	.globl	PI_HI
	.p2align	3, 0x0
PI_HI:
	.quad	0x0000000000000000              ; double 0
	.size	PI_HI, 8

	.protected	PI_LO                   ; @PI_LO
	.type	PI_LO,@object
	.globl	PI_LO
	.p2align	3, 0x0
PI_LO:
	.quad	0x0000000000000000              ; double 0
	.size	PI_LO, 8

	.protected	SQRT_2PI                ; @SQRT_2PI
	.type	SQRT_2PI,@object
	.globl	SQRT_2PI
	.p2align	3, 0x0
SQRT_2PI:
	.quad	0x0000000000000000              ; double 0
	.size	SQRT_2PI, 8

	.protected	SQRT_2PI_HI             ; @SQRT_2PI_HI
	.type	SQRT_2PI_HI,@object
	.globl	SQRT_2PI_HI
	.p2align	3, 0x0
SQRT_2PI_HI:
	.quad	0x0000000000000000              ; double 0
	.size	SQRT_2PI_HI, 8

	.protected	SQRT_2PI_LO             ; @SQRT_2PI_LO
	.type	SQRT_2PI_LO,@object
	.globl	SQRT_2PI_LO
	.p2align	3, 0x0
SQRT_2PI_LO:
	.quad	0x0000000000000000              ; double 0
	.size	SQRT_2PI_LO, 8

	.protected	SQRT_PIO2               ; @SQRT_PIO2
	.type	SQRT_PIO2,@object
	.globl	SQRT_PIO2
	.p2align	3, 0x0
SQRT_PIO2:
	.quad	0x0000000000000000              ; double 0
	.size	SQRT_PIO2, 8

	.protected	SQRT_PIO2_HI            ; @SQRT_PIO2_HI
	.type	SQRT_PIO2_HI,@object
	.globl	SQRT_PIO2_HI
	.p2align	3, 0x0
SQRT_PIO2_HI:
	.quad	0x0000000000000000              ; double 0
	.size	SQRT_PIO2_HI, 8

	.protected	SQRT_PIO2_LO            ; @SQRT_PIO2_LO
	.type	SQRT_PIO2_LO,@object
	.globl	SQRT_PIO2_LO
	.p2align	3, 0x0
SQRT_PIO2_LO:
	.quad	0x0000000000000000              ; double 0
	.size	SQRT_PIO2_LO, 8

	.protected	SQRT_2OPI               ; @SQRT_2OPI
	.type	SQRT_2OPI,@object
	.globl	SQRT_2OPI
	.p2align	3, 0x0
SQRT_2OPI:
	.quad	0x0000000000000000              ; double 0
	.size	SQRT_2OPI, 8

	.protected	L2E                     ; @L2E
	.type	L2E,@object
	.globl	L2E
	.p2align	3, 0x0
L2E:
	.quad	0x0000000000000000              ; double 0
	.size	L2E, 8

	.protected	L2E_HI                  ; @L2E_HI
	.type	L2E_HI,@object
	.globl	L2E_HI
	.p2align	3, 0x0
L2E_HI:
	.quad	0x0000000000000000              ; double 0
	.size	L2E_HI, 8

	.protected	L2E_LO                  ; @L2E_LO
	.type	L2E_LO,@object
	.globl	L2E_LO
	.p2align	3, 0x0
L2E_LO:
	.quad	0x0000000000000000              ; double 0
	.size	L2E_LO, 8

	.protected	L2T                     ; @L2T
	.type	L2T,@object
	.globl	L2T
	.p2align	3, 0x0
L2T:
	.quad	0x0000000000000000              ; double 0
	.size	L2T, 8

	.protected	LG2                     ; @LG2
	.type	LG2,@object
	.globl	LG2
	.p2align	3, 0x0
LG2:
	.quad	0x0000000000000000              ; double 0
	.size	LG2, 8

	.protected	LG2_HI                  ; @LG2_HI
	.type	LG2_HI,@object
	.globl	LG2_HI
	.p2align	3, 0x0
LG2_HI:
	.quad	0x0000000000000000              ; double 0
	.size	LG2_HI, 8

	.protected	LG2_LO                  ; @LG2_LO
	.type	LG2_LO,@object
	.globl	LG2_LO
	.p2align	3, 0x0
LG2_LO:
	.quad	0x0000000000000000              ; double 0
	.size	LG2_LO, 8

	.protected	LGE                     ; @LGE
	.type	LGE,@object
	.globl	LGE
	.p2align	3, 0x0
LGE:
	.quad	0x0000000000000000              ; double 0
	.size	LGE, 8

	.protected	LGE_HI                  ; @LGE_HI
	.type	LGE_HI,@object
	.globl	LGE_HI
	.p2align	3, 0x0
LGE_HI:
	.quad	0x0000000000000000              ; double 0
	.size	LGE_HI, 8

	.protected	LGE_LO                  ; @LGE_LO
	.type	LGE_LO,@object
	.globl	LGE_LO
	.p2align	3, 0x0
LGE_LO:
	.quad	0x0000000000000000              ; double 0
	.size	LGE_LO, 8

	.protected	LN2                     ; @LN2
	.type	LN2,@object
	.globl	LN2
	.p2align	3, 0x0
LN2:
	.quad	0x0000000000000000              ; double 0
	.size	LN2, 8

	.protected	LN2_HI                  ; @LN2_HI
	.type	LN2_HI,@object
	.globl	LN2_HI
	.p2align	3, 0x0
LN2_HI:
	.quad	0x0000000000000000              ; double 0
	.size	LN2_HI, 8

	.protected	LN2_LO                  ; @LN2_LO
	.type	LN2_LO,@object
	.globl	LN2_LO
	.p2align	3, 0x0
LN2_LO:
	.quad	0x0000000000000000              ; double 0
	.size	LN2_LO, 8

	.protected	LNT                     ; @LNT
	.type	LNT,@object
	.globl	LNT
	.p2align	3, 0x0
LNT:
	.quad	0x0000000000000000              ; double 0
	.size	LNT, 8

	.protected	LNT_HI                  ; @LNT_HI
	.type	LNT_HI,@object
	.globl	LNT_HI
	.p2align	3, 0x0
LNT_HI:
	.quad	0x0000000000000000              ; double 0
	.size	LNT_HI, 8

	.protected	LNT_LO                  ; @LNT_LO
	.type	LNT_LO,@object
	.globl	LNT_LO
	.p2align	3, 0x0
LNT_LO:
	.quad	0x0000000000000000              ; double 0
	.size	LNT_LO, 8

	.protected	LNPI                    ; @LNPI
	.type	LNPI,@object
	.globl	LNPI
	.p2align	3, 0x0
LNPI:
	.quad	0x0000000000000000              ; double 0
	.size	LNPI, 8

	.protected	LN2_X_1024              ; @LN2_X_1024
	.type	LN2_X_1024,@object
	.globl	LN2_X_1024
	.p2align	3, 0x0
LN2_X_1024:
	.quad	0x0000000000000000              ; double 0
	.size	LN2_X_1024, 8

	.protected	LN2_X_1025              ; @LN2_X_1025
	.type	LN2_X_1025,@object
	.globl	LN2_X_1025
	.p2align	3, 0x0
LN2_X_1025:
	.quad	0x0000000000000000              ; double 0
	.size	LN2_X_1025, 8

	.protected	LN2_X_1075              ; @LN2_X_1075
	.type	LN2_X_1075,@object
	.globl	LN2_X_1075
	.p2align	3, 0x0
LN2_X_1075:
	.quad	0x0000000000000000              ; double 0
	.size	LN2_X_1075, 8

	.protected	LG2_X_1024              ; @LG2_X_1024
	.type	LG2_X_1024,@object
	.globl	LG2_X_1024
	.p2align	3, 0x0
LG2_X_1024:
	.quad	0x0000000000000000              ; double 0
	.size	LG2_X_1024, 8

	.protected	LG2_X_1075              ; @LG2_X_1075
	.type	LG2_X_1075,@object
	.globl	LG2_X_1075
	.p2align	3, 0x0
LG2_X_1075:
	.quad	0x0000000000000000              ; double 0
	.size	LG2_X_1075, 8

	.protected	TWO_TO_23               ; @TWO_TO_23
	.type	TWO_TO_23,@object
	.globl	TWO_TO_23
	.p2align	3, 0x0
TWO_TO_23:
	.quad	0x0000000000000000              ; double 0
	.size	TWO_TO_23, 8

	.protected	TWO_TO_52               ; @TWO_TO_52
	.type	TWO_TO_52,@object
	.globl	TWO_TO_52
	.p2align	3, 0x0
TWO_TO_52:
	.quad	0x0000000000000000              ; double 0
	.size	TWO_TO_52, 8

	.protected	TWO_TO_53               ; @TWO_TO_53
	.type	TWO_TO_53,@object
	.globl	TWO_TO_53
	.p2align	3, 0x0
TWO_TO_53:
	.quad	0x0000000000000000              ; double 0
	.size	TWO_TO_53, 8

	.protected	TWO_TO_54               ; @TWO_TO_54
	.type	TWO_TO_54,@object
	.globl	TWO_TO_54
	.p2align	3, 0x0
TWO_TO_54:
	.quad	0x0000000000000000              ; double 0
	.size	TWO_TO_54, 8

	.protected	TWO_TO_M54              ; @TWO_TO_M54
	.type	TWO_TO_M54,@object
	.globl	TWO_TO_M54
	.p2align	3, 0x0
TWO_TO_M54:
	.quad	0x0000000000000000              ; double 0
	.size	TWO_TO_M54, 8

	.protected	TWO_TO_M1022            ; @TWO_TO_M1022
	.type	TWO_TO_M1022,@object
	.globl	TWO_TO_M1022
	.p2align	3, 0x0
TWO_TO_M1022:
	.quad	0x0000000000000000              ; double 0
	.size	TWO_TO_M1022, 8

	.protected	TRIG_PLOSS              ; @TRIG_PLOSS
	.type	TRIG_PLOSS,@object
	.globl	TRIG_PLOSS
	.p2align	3, 0x0
TRIG_PLOSS:
	.quad	0x0000000000000000              ; double 0
	.size	TRIG_PLOSS, 8

	.protected	DBL2INT_CVT             ; @DBL2INT_CVT
	.type	DBL2INT_CVT,@object
	.globl	DBL2INT_CVT
	.p2align	3, 0x0
DBL2INT_CVT:
	.quad	0x0000000000000000              ; double 0
	.size	DBL2INT_CVT, 8

	.type	__hip_cuid_b0c1374f79d13eca,@object ; @__hip_cuid_b0c1374f79d13eca
	.section	.bss,"aw",@nobits
	.globl	__hip_cuid_b0c1374f79d13eca
__hip_cuid_b0c1374f79d13eca:
	.byte	0                               ; 0x0
	.size	__hip_cuid_b0c1374f79d13eca, 1

	.ident	"AMD clang version 22.0.0git (https://github.com/RadeonOpenCompute/llvm-project roc-7.2.4 26084 f58b06dce1f9c15707c5f808fd002e18c2accf7e)"
	.section	".note.GNU-stack","",@progbits
	.addrsig
	.addrsig_sym INF_F
	.addrsig_sym NAN_F
	.addrsig_sym MIN_DENORM_F
	.addrsig_sym MAX_NORMAL_F
	.addrsig_sym NEG_ZERO_F
	.addrsig_sym ZERO_F
	.addrsig_sym ONE_F
	.addrsig_sym SQRT_HALF_F
	.addrsig_sym SQRT_HALF_HI_F
	.addrsig_sym SQRT_HALF_LO_F
	.addrsig_sym SQRT_TWO_F
	.addrsig_sym THIRD_F
	.addrsig_sym PIO4_F
	.addrsig_sym PIO2_F
	.addrsig_sym _3PIO4_F
	.addrsig_sym _2_OVER_PI_F
	.addrsig_sym SQRT_2_OVER_PI_F
	.addrsig_sym PI_F
	.addrsig_sym L2E_F
	.addrsig_sym L2T_F
	.addrsig_sym LG2_F
	.addrsig_sym LGE_F
	.addrsig_sym LN2_F
	.addrsig_sym LNT_F
	.addrsig_sym LNPI_F
	.addrsig_sym TWO_TO_M126_F
	.addrsig_sym TWO_TO_126_F
	.addrsig_sym NORM_HUGE_F
	.addrsig_sym TWO_TO_23_F
	.addrsig_sym TWO_TO_24_F
	.addrsig_sym TWO_TO_31_F
	.addrsig_sym TWO_TO_32_F
	.addrsig_sym REMQUO_BITS_F
	.addrsig_sym REMQUO_MASK_F
	.addrsig_sym TRIG_PLOSS_F
	.addrsig_sym INF
	.addrsig_sym NAN_
	.addrsig_sym NEG_ZERO
	.addrsig_sym MIN_DENORM
	.addrsig_sym ZERO
	.addrsig_sym ONE
	.addrsig_sym SQRT_TWO
	.addrsig_sym SQRT_HALF
	.addrsig_sym SQRT_HALF_HI
	.addrsig_sym SQRT_HALF_LO
	.addrsig_sym THIRD
	.addrsig_sym TWOTHIRD
	.addrsig_sym PIO4
	.addrsig_sym PIO4_HI
	.addrsig_sym PIO4_LO
	.addrsig_sym PIO2
	.addrsig_sym PIO2_HI
	.addrsig_sym PIO2_LO
	.addrsig_sym _3PIO4
	.addrsig_sym _2_OVER_PI
	.addrsig_sym _PI
	.addrsig_sym PI_HI
	.addrsig_sym PI_LO
	.addrsig_sym SQRT_2PI
	.addrsig_sym SQRT_2PI_HI
	.addrsig_sym SQRT_2PI_LO
	.addrsig_sym SQRT_PIO2
	.addrsig_sym SQRT_PIO2_HI
	.addrsig_sym SQRT_PIO2_LO
	.addrsig_sym SQRT_2OPI
	.addrsig_sym L2E
	.addrsig_sym L2E_HI
	.addrsig_sym L2E_LO
	.addrsig_sym L2T
	.addrsig_sym LG2
	.addrsig_sym LG2_HI
	.addrsig_sym LG2_LO
	.addrsig_sym LGE
	.addrsig_sym LGE_HI
	.addrsig_sym LGE_LO
	.addrsig_sym LN2
	.addrsig_sym LN2_HI
	.addrsig_sym LN2_LO
	.addrsig_sym LNT
	.addrsig_sym LNT_HI
	.addrsig_sym LNT_LO
	.addrsig_sym LNPI
	.addrsig_sym LN2_X_1024
	.addrsig_sym LN2_X_1025
	.addrsig_sym LN2_X_1075
	.addrsig_sym LG2_X_1024
	.addrsig_sym LG2_X_1075
	.addrsig_sym TWO_TO_23
	.addrsig_sym TWO_TO_52
	.addrsig_sym TWO_TO_53
	.addrsig_sym TWO_TO_54
	.addrsig_sym TWO_TO_M54
	.addrsig_sym TWO_TO_M1022
	.addrsig_sym TRIG_PLOSS
	.addrsig_sym DBL2INT_CVT
	.addrsig_sym __hip_cuid_b0c1374f79d13eca
	.amdgpu_metadata
---
amdhsa.kernels:
  - .args:           []
    .group_segment_fixed_size: 0
    .kernarg_segment_align: 4
    .kernarg_segment_size: 0
    .language:       OpenCL C
    .language_version:
      - 2
      - 0
    .max_flat_workgroup_size: 1024
    .name:           _Z4initv
    .private_segment_fixed_size: 0
    .sgpr_count:     0
    .sgpr_spill_count: 0
    .symbol:         _Z4initv.kd
    .uniform_work_group_size: 1
    .uses_dynamic_stack: false
    .vgpr_count:     0
    .vgpr_spill_count: 0
    .wavefront_size: 32
amdhsa.target:   amdgcn-amd-amdhsa--gfx1250
amdhsa.version:
  - 1
  - 2
...

	.end_amdgpu_metadata
